;; amdgpu-corpus repo=ROCm/rocFFT kind=compiled arch=gfx906 opt=O3
	.text
	.amdgcn_target "amdgcn-amd-amdhsa--gfx906"
	.amdhsa_code_object_version 6
	.protected	fft_rtc_back_len847_factors_11_7_11_wgs_231_tpt_77_halfLds_sp_ip_CI_sbrr_dirReg ; -- Begin function fft_rtc_back_len847_factors_11_7_11_wgs_231_tpt_77_halfLds_sp_ip_CI_sbrr_dirReg
	.globl	fft_rtc_back_len847_factors_11_7_11_wgs_231_tpt_77_halfLds_sp_ip_CI_sbrr_dirReg
	.p2align	8
	.type	fft_rtc_back_len847_factors_11_7_11_wgs_231_tpt_77_halfLds_sp_ip_CI_sbrr_dirReg,@function
fft_rtc_back_len847_factors_11_7_11_wgs_231_tpt_77_halfLds_sp_ip_CI_sbrr_dirReg: ; @fft_rtc_back_len847_factors_11_7_11_wgs_231_tpt_77_halfLds_sp_ip_CI_sbrr_dirReg
; %bb.0:
	s_load_dwordx2 s[14:15], s[4:5], 0x18
	s_load_dwordx4 s[8:11], s[4:5], 0x0
	s_load_dwordx2 s[12:13], s[4:5], 0x50
	v_mul_u32_u24_e32 v1, 0x354, v0
	v_lshrrev_b32_e32 v1, 16, v1
	s_waitcnt lgkmcnt(0)
	s_load_dwordx2 s[2:3], s[14:15], 0x0
	v_mad_u64_u32 v[2:3], s[0:1], s6, 3, v[1:2]
	v_mov_b32_e32 v6, 0
	v_cmp_lt_u64_e64 s[0:1], s[10:11], 2
	v_mov_b32_e32 v3, v6
	v_mov_b32_e32 v4, 0
	;; [unrolled: 1-line block ×3, first 2 shown]
	s_and_b64 vcc, exec, s[0:1]
	v_mov_b32_e32 v5, 0
	v_mov_b32_e32 v10, v2
	s_cbranch_vccnz .LBB0_8
; %bb.1:
	s_load_dwordx2 s[0:1], s[4:5], 0x10
	s_add_u32 s6, s14, 8
	s_addc_u32 s7, s15, 0
	v_mov_b32_e32 v4, 0
	v_mov_b32_e32 v9, v3
	s_waitcnt lgkmcnt(0)
	s_add_u32 s18, s0, 8
	s_mov_b64 s[16:17], 1
	v_mov_b32_e32 v5, 0
	s_addc_u32 s19, s1, 0
	v_mov_b32_e32 v8, v2
.LBB0_2:                                ; =>This Inner Loop Header: Depth=1
	s_load_dwordx2 s[20:21], s[18:19], 0x0
                                        ; implicit-def: $vgpr10_vgpr11
	s_waitcnt lgkmcnt(0)
	v_or_b32_e32 v7, s21, v9
	v_cmp_ne_u64_e32 vcc, 0, v[6:7]
	s_and_saveexec_b64 s[0:1], vcc
	s_xor_b64 s[22:23], exec, s[0:1]
	s_cbranch_execz .LBB0_4
; %bb.3:                                ;   in Loop: Header=BB0_2 Depth=1
	v_cvt_f32_u32_e32 v1, s20
	v_cvt_f32_u32_e32 v3, s21
	s_sub_u32 s0, 0, s20
	s_subb_u32 s1, 0, s21
	v_mac_f32_e32 v1, 0x4f800000, v3
	v_rcp_f32_e32 v1, v1
	v_mul_f32_e32 v1, 0x5f7ffffc, v1
	v_mul_f32_e32 v3, 0x2f800000, v1
	v_trunc_f32_e32 v3, v3
	v_mac_f32_e32 v1, 0xcf800000, v3
	v_cvt_u32_f32_e32 v3, v3
	v_cvt_u32_f32_e32 v1, v1
	v_mul_lo_u32 v7, s0, v3
	v_mul_hi_u32 v10, s0, v1
	v_mul_lo_u32 v12, s1, v1
	v_mul_lo_u32 v11, s0, v1
	v_add_u32_e32 v7, v10, v7
	v_add_u32_e32 v7, v7, v12
	v_mul_hi_u32 v10, v1, v11
	v_mul_lo_u32 v12, v1, v7
	v_mul_hi_u32 v14, v1, v7
	v_mul_hi_u32 v13, v3, v11
	v_mul_lo_u32 v11, v3, v11
	v_mul_hi_u32 v15, v3, v7
	v_add_co_u32_e32 v10, vcc, v10, v12
	v_addc_co_u32_e32 v12, vcc, 0, v14, vcc
	v_mul_lo_u32 v7, v3, v7
	v_add_co_u32_e32 v10, vcc, v10, v11
	v_addc_co_u32_e32 v10, vcc, v12, v13, vcc
	v_addc_co_u32_e32 v11, vcc, 0, v15, vcc
	v_add_co_u32_e32 v7, vcc, v10, v7
	v_addc_co_u32_e32 v10, vcc, 0, v11, vcc
	v_add_co_u32_e32 v1, vcc, v1, v7
	v_addc_co_u32_e32 v3, vcc, v3, v10, vcc
	v_mul_lo_u32 v7, s0, v3
	v_mul_hi_u32 v10, s0, v1
	v_mul_lo_u32 v11, s1, v1
	v_mul_lo_u32 v12, s0, v1
	v_add_u32_e32 v7, v10, v7
	v_add_u32_e32 v7, v7, v11
	v_mul_lo_u32 v13, v1, v7
	v_mul_hi_u32 v14, v1, v12
	v_mul_hi_u32 v15, v1, v7
	;; [unrolled: 1-line block ×3, first 2 shown]
	v_mul_lo_u32 v12, v3, v12
	v_mul_hi_u32 v10, v3, v7
	v_add_co_u32_e32 v13, vcc, v14, v13
	v_addc_co_u32_e32 v14, vcc, 0, v15, vcc
	v_mul_lo_u32 v7, v3, v7
	v_add_co_u32_e32 v12, vcc, v13, v12
	v_addc_co_u32_e32 v11, vcc, v14, v11, vcc
	v_addc_co_u32_e32 v10, vcc, 0, v10, vcc
	v_add_co_u32_e32 v7, vcc, v11, v7
	v_addc_co_u32_e32 v10, vcc, 0, v10, vcc
	v_add_co_u32_e32 v1, vcc, v1, v7
	v_addc_co_u32_e32 v3, vcc, v3, v10, vcc
	v_mad_u64_u32 v[10:11], s[0:1], v8, v3, 0
	v_mul_hi_u32 v7, v8, v1
	v_mad_u64_u32 v[12:13], s[0:1], v9, v3, 0
	v_add_co_u32_e32 v7, vcc, v7, v10
	v_addc_co_u32_e32 v14, vcc, 0, v11, vcc
	v_mad_u64_u32 v[10:11], s[0:1], v9, v1, 0
	v_add_co_u32_e32 v1, vcc, v7, v10
	v_addc_co_u32_e32 v1, vcc, v14, v11, vcc
	v_addc_co_u32_e32 v3, vcc, 0, v13, vcc
	v_add_co_u32_e32 v1, vcc, v1, v12
	v_addc_co_u32_e32 v3, vcc, 0, v3, vcc
	v_mul_lo_u32 v7, s21, v1
	v_mul_lo_u32 v12, s20, v3
	v_mad_u64_u32 v[10:11], s[0:1], s20, v1, 0
	v_add3_u32 v7, v11, v12, v7
	v_sub_u32_e32 v11, v9, v7
	v_mov_b32_e32 v12, s21
	v_sub_co_u32_e32 v10, vcc, v8, v10
	v_subb_co_u32_e64 v11, s[0:1], v11, v12, vcc
	v_subrev_co_u32_e64 v12, s[0:1], s20, v10
	v_subbrev_co_u32_e64 v11, s[0:1], 0, v11, s[0:1]
	v_cmp_le_u32_e64 s[0:1], s21, v11
	v_cndmask_b32_e64 v13, 0, -1, s[0:1]
	v_cmp_le_u32_e64 s[0:1], s20, v12
	v_cndmask_b32_e64 v12, 0, -1, s[0:1]
	v_cmp_eq_u32_e64 s[0:1], s21, v11
	v_cndmask_b32_e64 v11, v13, v12, s[0:1]
	v_add_co_u32_e64 v12, s[0:1], 2, v1
	v_addc_co_u32_e64 v13, s[0:1], 0, v3, s[0:1]
	v_add_co_u32_e64 v14, s[0:1], 1, v1
	v_addc_co_u32_e64 v15, s[0:1], 0, v3, s[0:1]
	v_subb_co_u32_e32 v7, vcc, v9, v7, vcc
	v_cmp_ne_u32_e64 s[0:1], 0, v11
	v_cmp_le_u32_e32 vcc, s21, v7
	v_cndmask_b32_e64 v11, v15, v13, s[0:1]
	v_cndmask_b32_e64 v13, 0, -1, vcc
	v_cmp_le_u32_e32 vcc, s20, v10
	v_cndmask_b32_e64 v10, 0, -1, vcc
	v_cmp_eq_u32_e32 vcc, s21, v7
	v_cndmask_b32_e32 v7, v13, v10, vcc
	v_cmp_ne_u32_e32 vcc, 0, v7
	v_cndmask_b32_e32 v11, v3, v11, vcc
	v_cndmask_b32_e64 v3, v14, v12, s[0:1]
	v_cndmask_b32_e32 v10, v1, v3, vcc
.LBB0_4:                                ;   in Loop: Header=BB0_2 Depth=1
	s_andn2_saveexec_b64 s[0:1], s[22:23]
	s_cbranch_execz .LBB0_6
; %bb.5:                                ;   in Loop: Header=BB0_2 Depth=1
	v_cvt_f32_u32_e32 v1, s20
	s_sub_i32 s22, 0, s20
	v_mov_b32_e32 v11, v6
	v_rcp_iflag_f32_e32 v1, v1
	v_mul_f32_e32 v1, 0x4f7ffffe, v1
	v_cvt_u32_f32_e32 v1, v1
	v_mul_lo_u32 v3, s22, v1
	v_mul_hi_u32 v3, v1, v3
	v_add_u32_e32 v1, v1, v3
	v_mul_hi_u32 v1, v8, v1
	v_mul_lo_u32 v3, v1, s20
	v_add_u32_e32 v7, 1, v1
	v_sub_u32_e32 v3, v8, v3
	v_subrev_u32_e32 v10, s20, v3
	v_cmp_le_u32_e32 vcc, s20, v3
	v_cndmask_b32_e32 v3, v3, v10, vcc
	v_cndmask_b32_e32 v1, v1, v7, vcc
	v_add_u32_e32 v7, 1, v1
	v_cmp_le_u32_e32 vcc, s20, v3
	v_cndmask_b32_e32 v10, v1, v7, vcc
.LBB0_6:                                ;   in Loop: Header=BB0_2 Depth=1
	s_or_b64 exec, exec, s[0:1]
	v_mul_lo_u32 v1, v11, s20
	v_mul_lo_u32 v3, v10, s21
	v_mad_u64_u32 v[12:13], s[0:1], v10, s20, 0
	s_load_dwordx2 s[0:1], s[6:7], 0x0
	s_add_u32 s16, s16, 1
	v_add3_u32 v1, v13, v3, v1
	v_sub_co_u32_e32 v3, vcc, v8, v12
	v_subb_co_u32_e32 v1, vcc, v9, v1, vcc
	s_waitcnt lgkmcnt(0)
	v_mul_lo_u32 v1, s0, v1
	v_mul_lo_u32 v7, s1, v3
	v_mad_u64_u32 v[4:5], s[0:1], s0, v3, v[4:5]
	s_addc_u32 s17, s17, 0
	s_add_u32 s6, s6, 8
	v_add3_u32 v5, v7, v5, v1
	v_mov_b32_e32 v7, s10
	v_mov_b32_e32 v8, s11
	s_addc_u32 s7, s7, 0
	v_cmp_ge_u64_e32 vcc, s[16:17], v[7:8]
	s_add_u32 s18, s18, 8
	s_addc_u32 s19, s19, 0
	s_cbranch_vccnz .LBB0_8
; %bb.7:                                ;   in Loop: Header=BB0_2 Depth=1
	v_mov_b32_e32 v8, v10
	v_mov_b32_e32 v9, v11
	s_branch .LBB0_2
.LBB0_8:
	s_lshl_b64 s[0:1], s[10:11], 3
	s_add_u32 s0, s14, s0
	s_addc_u32 s1, s15, s1
	s_load_dwordx2 s[6:7], s[0:1], 0x0
	s_load_dwordx2 s[10:11], s[4:5], 0x20
                                        ; implicit-def: $vgpr38
	s_waitcnt lgkmcnt(0)
	v_mad_u64_u32 v[3:4], s[0:1], s6, v10, v[4:5]
	s_mov_b32 s0, 0x3531ded
	v_mul_lo_u32 v1, s6, v11
	v_mul_lo_u32 v6, s7, v10
	v_mul_hi_u32 v5, v0, s0
	v_cmp_gt_u64_e32 vcc, s[10:11], v[10:11]
	v_cmp_le_u64_e64 s[0:1], s[10:11], v[10:11]
	v_add3_u32 v4, v6, v4, v1
	v_mul_u32_u24_e32 v1, 0x4d, v5
	v_sub_u32_e32 v37, v0, v1
                                        ; implicit-def: $sgpr6_sgpr7
                                        ; implicit-def: $sgpr10
	s_and_saveexec_b64 s[4:5], s[0:1]
	s_xor_b64 s[0:1], exec, s[4:5]
; %bb.9:
	v_add_u32_e32 v38, 0x4d, v37
	s_mov_b32 s10, 0
	s_mov_b64 s[6:7], 0
; %bb.10:
	s_or_saveexec_b64 s[4:5], s[0:1]
	v_lshlrev_b64 v[0:1], 3, v[3:4]
	v_mov_b32_e32 v17, s7
	v_mov_b32_e32 v36, s10
	;; [unrolled: 1-line block ×3, first 2 shown]
                                        ; implicit-def: $vgpr27
                                        ; implicit-def: $vgpr19
                                        ; implicit-def: $vgpr13
                                        ; implicit-def: $vgpr9
                                        ; implicit-def: $vgpr5
                                        ; implicit-def: $vgpr11
                                        ; implicit-def: $vgpr15
                                        ; implicit-def: $vgpr23
                                        ; implicit-def: $vgpr35
                                        ; implicit-def: $vgpr7
	s_xor_b64 exec, exec, s[4:5]
	s_cbranch_execz .LBB0_12
; %bb.11:
	v_mad_u64_u32 v[3:4], s[0:1], s2, v37, 0
	v_add_u32_e32 v38, 0x4d, v37
	v_mov_b32_e32 v7, s13
	v_mad_u64_u32 v[4:5], s[0:1], s3, v37, v[4:5]
	v_mad_u64_u32 v[5:6], s[0:1], s2, v38, 0
	v_add_co_u32_e64 v11, s[0:1], s12, v0
	v_addc_co_u32_e64 v12, s[0:1], v7, v1, s[0:1]
	v_mad_u64_u32 v[6:7], s[0:1], s3, v38, v[6:7]
	v_add_u32_e32 v9, 0x9a, v37
	v_mad_u64_u32 v[7:8], s[0:1], s2, v9, 0
	v_lshlrev_b64 v[3:4], 3, v[3:4]
	v_mov_b32_e32 v36, v37
	v_add_co_u32_e64 v20, s[0:1], v11, v3
	v_addc_co_u32_e64 v21, s[0:1], v12, v4, s[0:1]
	v_lshlrev_b64 v[3:4], 3, v[5:6]
	v_mov_b32_e32 v5, v8
	v_mad_u64_u32 v[5:6], s[0:1], s3, v9, v[5:6]
	v_add_u32_e32 v6, 0xe7, v37
	v_mad_u64_u32 v[9:10], s[0:1], s2, v6, 0
	v_add_co_u32_e64 v24, s[0:1], v11, v3
	v_mov_b32_e32 v8, v5
	v_mov_b32_e32 v5, v10
	v_addc_co_u32_e64 v25, s[0:1], v12, v4, s[0:1]
	v_lshlrev_b64 v[3:4], 3, v[7:8]
	v_mad_u64_u32 v[5:6], s[0:1], s3, v6, v[5:6]
	v_add_u32_e32 v8, 0x134, v37
	v_mad_u64_u32 v[6:7], s[0:1], s2, v8, 0
	v_add_co_u32_e64 v28, s[0:1], v11, v3
	v_mov_b32_e32 v10, v5
	v_mov_b32_e32 v5, v7
	v_addc_co_u32_e64 v29, s[0:1], v12, v4, s[0:1]
	v_lshlrev_b64 v[3:4], 3, v[9:10]
	v_mad_u64_u32 v[7:8], s[0:1], s3, v8, v[5:6]
	v_add_u32_e32 v10, 0x181, v37
	v_mad_u64_u32 v[8:9], s[0:1], s2, v10, 0
	v_add_co_u32_e64 v30, s[0:1], v11, v3
	v_mov_b32_e32 v5, v9
	v_addc_co_u32_e64 v31, s[0:1], v12, v4, s[0:1]
	v_lshlrev_b64 v[3:4], 3, v[6:7]
	v_mad_u64_u32 v[5:6], s[0:1], s3, v10, v[5:6]
	v_add_u32_e32 v10, 0x1ce, v37
	v_mad_u64_u32 v[6:7], s[0:1], s2, v10, 0
	v_add_co_u32_e64 v32, s[0:1], v11, v3
	v_mov_b32_e32 v9, v5
	v_mov_b32_e32 v5, v7
	v_addc_co_u32_e64 v33, s[0:1], v12, v4, s[0:1]
	v_lshlrev_b64 v[3:4], 3, v[8:9]
	v_mad_u64_u32 v[7:8], s[0:1], s3, v10, v[5:6]
	v_add_u32_e32 v10, 0x21b, v37
	v_mad_u64_u32 v[8:9], s[0:1], s2, v10, 0
	v_add_co_u32_e64 v39, s[0:1], v11, v3
	;; [unrolled: 15-line block ×3, first 2 shown]
	v_mov_b32_e32 v5, v9
	v_addc_co_u32_e64 v44, s[0:1], v12, v4, s[0:1]
	v_lshlrev_b64 v[3:4], 3, v[6:7]
	v_mad_u64_u32 v[5:6], s[0:1], s3, v10, v[5:6]
	v_add_u32_e32 v10, 0x302, v37
	v_mad_u64_u32 v[6:7], s[0:1], s2, v10, 0
	v_add_co_u32_e64 v45, s[0:1], v11, v3
	v_mov_b32_e32 v9, v5
	v_mov_b32_e32 v5, v7
	v_addc_co_u32_e64 v46, s[0:1], v12, v4, s[0:1]
	v_lshlrev_b64 v[3:4], 3, v[8:9]
	v_mad_u64_u32 v[7:8], s[0:1], s3, v10, v[5:6]
	v_add_co_u32_e64 v47, s[0:1], v11, v3
	v_addc_co_u32_e64 v48, s[0:1], v12, v4, s[0:1]
	v_lshlrev_b64 v[3:4], 3, v[6:7]
	v_add_co_u32_e64 v49, s[0:1], v11, v3
	v_addc_co_u32_e64 v50, s[0:1], v12, v4, s[0:1]
	global_load_dwordx2 v[16:17], v[20:21], off
	global_load_dwordx2 v[26:27], v[24:25], off
	;; [unrolled: 1-line block ×11, first 2 shown]
.LBB0_12:
	s_or_b64 exec, exec, s[4:5]
	s_mov_b32 s0, 0xaaaaaaab
	v_mul_hi_u32 v3, v2, s0
	s_waitcnt vmcnt(0)
	v_sub_f32_e32 v21, v27, v35
	v_add_f32_e32 v20, v26, v34
	v_mul_f32_e32 v24, 0xbf68dda4, v21
	v_lshrrev_b32_e32 v3, 1, v3
	v_lshl_add_u32 v3, v3, 1, v3
	s_mov_b32 s6, 0x3ed4b147
	v_sub_f32_e32 v29, v19, v23
	v_sub_u32_e32 v25, v2, v3
	v_fma_f32 v2, v20, s6, -v24
	s_mov_b32 s7, 0xbf27a4f4
	v_add_f32_e32 v28, v18, v22
	v_mul_f32_e32 v30, 0xbf4178ce, v29
	v_add_f32_e32 v2, v2, v16
	v_fma_f32 v3, v28, s7, -v30
	s_mov_b32 s10, 0xbe11bafb
	v_mul_f32_e32 v31, 0xbf7d64f0, v21
	v_add_f32_e32 v2, v3, v2
	v_fma_f32 v3, v20, s10, -v31
	s_mov_b32 s11, 0xbf75a155
	v_mul_f32_e32 v32, 0x3e903f40, v29
	v_add_f32_e32 v3, v3, v16
	v_fma_f32 v33, v28, s11, -v32
	v_sub_f32_e32 v39, v13, v15
	v_add_f32_e32 v3, v33, v3
	v_add_f32_e32 v33, v12, v14
	v_mul_f32_e32 v40, 0x3e903f40, v39
	v_fma_f32 v41, v33, s11, -v40
	v_add_f32_e32 v2, v41, v2
	v_mul_f32_e32 v41, 0x3f68dda4, v39
	v_fma_f32 v42, v33, s6, -v41
	v_sub_f32_e32 v43, v9, v11
	v_add_f32_e32 v3, v42, v3
	v_add_f32_e32 v42, v8, v10
	v_mul_f32_e32 v45, 0x3f7d64f0, v43
	v_fma_f32 v44, v42, s10, -v45
	s_mov_b32 s14, 0x3f575c64
	v_mul_f32_e32 v46, 0xbf0a6770, v43
	v_sub_f32_e32 v48, v5, v7
	v_add_f32_e32 v2, v44, v2
	v_fma_f32 v44, v42, s14, -v46
	v_add_f32_e32 v47, v4, v6
	v_mul_f32_e32 v49, 0x3f0a6770, v48
	v_add_f32_e32 v44, v44, v3
	v_fma_f32 v3, v47, s14, -v49
	v_mul_f32_e32 v50, 0xbf4178ce, v48
	v_add_f32_e32 v3, v3, v2
	v_fma_f32 v2, v47, s7, -v50
	v_mul_f32_e32 v51, 0xbf0a6770, v21
	v_add_f32_e32 v2, v2, v44
	v_mov_b32_e32 v44, v51
	v_mul_f32_e32 v52, 0xbf68dda4, v29
	v_fmac_f32_e32 v44, 0x3f575c64, v20
	v_mov_b32_e32 v53, v52
	v_add_f32_e32 v44, v44, v16
	v_fmac_f32_e32 v53, 0x3ed4b147, v28
	v_add_f32_e32 v44, v53, v44
	v_mul_f32_e32 v53, 0xbf7d64f0, v39
	v_mul_u32_u24_e32 v57, 0x34f, v25
	v_add_f32_e32 v25, v26, v16
	v_mov_b32_e32 v54, v53
	v_add_f32_e32 v25, v18, v25
	v_fmac_f32_e32 v54, 0xbe11bafb, v33
	v_add_f32_e32 v25, v12, v25
	v_add_f32_e32 v44, v54, v44
	v_mul_f32_e32 v54, 0xbf4178ce, v43
	v_add_f32_e32 v25, v8, v25
	v_mov_b32_e32 v55, v54
	v_add_f32_e32 v25, v4, v25
	v_fmac_f32_e32 v55, 0xbf27a4f4, v42
	v_add_f32_e32 v25, v6, v25
	v_add_f32_e32 v44, v55, v44
	v_mul_f32_e32 v55, 0xbe903f40, v48
	v_add_f32_e32 v25, v10, v25
	v_mov_b32_e32 v56, v55
	v_add_f32_e32 v25, v14, v25
	v_fmac_f32_e32 v56, 0xbf75a155, v47
	v_add_f32_e32 v25, v22, v25
	v_lshl_add_u32 v58, v57, 2, 0
	v_add_f32_e32 v56, v56, v44
	v_add_f32_e32 v25, v34, v25
	v_mad_u32_u24 v44, v37, 44, v58
	v_fmac_f32_e32 v24, 0x3ed4b147, v20
	v_fmac_f32_e32 v31, 0xbe11bafb, v20
	ds_write2_b32 v44, v25, v56 offset1:1
	v_add_f32_e32 v24, v24, v16
	v_fmac_f32_e32 v30, 0xbf27a4f4, v28
	v_add_f32_e32 v25, v31, v16
	v_fmac_f32_e32 v32, 0xbf75a155, v28
	v_add_f32_e32 v24, v30, v24
	v_add_f32_e32 v25, v32, v25
	v_fmac_f32_e32 v40, 0xbf75a155, v33
	v_fmac_f32_e32 v41, 0x3ed4b147, v33
	v_add_f32_e32 v24, v40, v24
	v_add_f32_e32 v25, v41, v25
	v_fmac_f32_e32 v45, 0xbe11bafb, v42
	;; [unrolled: 4-line block ×3, first 2 shown]
	v_fmac_f32_e32 v50, 0xbf27a4f4, v47
	v_add_f32_e32 v24, v49, v24
	v_add_f32_e32 v25, v50, v25
	ds_write2_b32 v44, v24, v25 offset0:2 offset1:3
	v_mul_f32_e32 v24, 0xbf4178ce, v21
	v_mov_b32_e32 v25, v24
	v_mul_f32_e32 v30, 0x3f7d64f0, v29
	v_fmac_f32_e32 v25, 0xbf27a4f4, v20
	v_mov_b32_e32 v31, v30
	v_add_f32_e32 v25, v25, v16
	v_fmac_f32_e32 v31, 0xbe11bafb, v28
	v_mul_f32_e32 v21, 0xbe903f40, v21
	v_add_f32_e32 v25, v31, v25
	v_mov_b32_e32 v31, v21
	v_mul_f32_e32 v29, 0x3f0a6770, v29
	v_fmac_f32_e32 v31, 0xbf75a155, v20
	v_mov_b32_e32 v32, v29
	v_add_f32_e32 v31, v31, v16
	v_fmac_f32_e32 v32, 0x3f575c64, v28
	v_add_f32_e32 v31, v32, v31
	v_mul_f32_e32 v32, 0xbf0a6770, v39
	v_mov_b32_e32 v40, v32
	v_fmac_f32_e32 v40, 0x3f575c64, v33
	v_mul_f32_e32 v39, 0xbf4178ce, v39
	v_add_f32_e32 v25, v40, v25
	v_mov_b32_e32 v40, v39
	v_fmac_f32_e32 v40, 0xbf27a4f4, v33
	v_add_f32_e32 v31, v40, v31
	v_mul_f32_e32 v40, 0xbe903f40, v43
	v_mov_b32_e32 v41, v40
	v_fmac_f32_e32 v41, 0xbf75a155, v42
	v_add_f32_e32 v25, v41, v25
	v_mul_f32_e32 v41, 0x3f68dda4, v43
	;; [unrolled: 4-line block ×4, first 2 shown]
	v_mov_b32_e32 v46, v45
	v_fmac_f32_e32 v46, 0xbe11bafb, v47
	v_add_f32_e32 v31, v46, v31
	ds_write2_b32 v44, v25, v31 offset0:4 offset1:5
	v_fma_f32 v25, v20, s14, -v51
	v_fma_f32 v24, v20, s7, -v24
	;; [unrolled: 1-line block ×3, first 2 shown]
	v_add_f32_e32 v21, v25, v16
	v_fma_f32 v25, v28, s6, -v52
	v_add_f32_e32 v21, v25, v21
	v_add_f32_e32 v24, v24, v16
	v_fma_f32 v25, v28, s10, -v30
	v_add_f32_e32 v16, v20, v16
	v_fma_f32 v20, v33, s10, -v53
	;; [unrolled: 2-line block ×4, first 2 shown]
	v_add_f32_e32 v16, v25, v16
	v_add_f32_e32 v21, v21, v24
	v_fma_f32 v24, v33, s7, -v39
	v_add_f32_e32 v16, v24, v16
	v_fma_f32 v24, v42, s7, -v54
	v_add_f32_e32 v20, v24, v20
	v_fma_f32 v24, v42, s11, -v40
	v_add_f32_e32 v21, v24, v21
	v_fma_f32 v24, v42, s6, -v41
	v_add_f32_e32 v16, v24, v16
	v_fma_f32 v24, v47, s6, -v43
	v_add_f32_e32 v42, v24, v21
	v_fma_f32 v24, v47, s10, -v45
	v_add_f32_e32 v16, v24, v16
	s_movk_i32 s0, 0xffd8
	v_fma_f32 v21, v47, s11, -v55
	ds_write2_b32 v44, v16, v42 offset0:6 offset1:7
	v_lshl_add_u32 v39, v37, 2, v58
	v_mad_i32_i24 v16, v37, s0, v44
	v_add_f32_e32 v20, v21, v20
	ds_write2_b32 v44, v2, v3 offset0:8 offset1:9
	ds_write_b32 v44, v20 offset:40
	s_waitcnt lgkmcnt(0)
	s_barrier
	ds_read_b32 v43, v39
	v_add_u32_e32 v45, 0x400, v16
	v_add_u32_e32 v46, 0x800, v16
	ds_read2_b32 v[30:31], v16 offset0:121 offset1:242
	ds_read2_b32 v[28:29], v45 offset0:107 offset1:228
	;; [unrolled: 1-line block ×3, first 2 shown]
	v_cmp_gt_u32_e64 s[0:1], 44, v37
	v_lshlrev_b32_e32 v40, 2, v57
	v_lshlrev_b32_e32 v41, 2, v38
                                        ; implicit-def: $vgpr33
	s_and_saveexec_b64 s[4:5], s[0:1]
	s_cbranch_execz .LBB0_14
; %bb.13:
	v_add3_u32 v2, 0, v41, v40
	ds_read_b32 v42, v2
	v_add_u32_e32 v2, 0x200, v16
	v_add_u32_e32 v20, 0x600, v16
	;; [unrolled: 1-line block ×3, first 2 shown]
	ds_read2_b32 v[2:3], v2 offset0:70 offset1:191
	ds_read2_b32 v[20:21], v20 offset0:56 offset1:177
	;; [unrolled: 1-line block ×3, first 2 shown]
.LBB0_14:
	s_or_b64 exec, exec, s[4:5]
	v_add_f32_e32 v47, v27, v17
	v_add_f32_e32 v47, v19, v47
	;; [unrolled: 1-line block ×8, first 2 shown]
	v_sub_f32_e32 v26, v26, v34
	v_add_f32_e32 v47, v23, v47
	v_add_f32_e32 v27, v27, v35
	v_mul_f32_e32 v34, 0xbf0a6770, v26
	v_mul_f32_e32 v48, 0xbf68dda4, v26
	v_mul_f32_e32 v50, 0xbf7d64f0, v26
	v_mul_f32_e32 v52, 0xbf4178ce, v26
	v_mul_f32_e32 v26, 0xbe903f40, v26
	v_sub_f32_e32 v18, v18, v22
	v_add_f32_e32 v47, v35, v47
	v_fma_f32 v35, v27, s14, -v34
	v_fmac_f32_e32 v34, 0x3f575c64, v27
	v_fma_f32 v49, v27, s6, -v48
	v_fmac_f32_e32 v48, 0x3ed4b147, v27
	;; [unrolled: 2-line block ×5, first 2 shown]
	v_add_f32_e32 v19, v19, v23
	v_mul_f32_e32 v22, 0xbf68dda4, v18
	v_add_f32_e32 v35, v35, v17
	v_add_f32_e32 v34, v34, v17
	;; [unrolled: 1-line block ×10, first 2 shown]
	v_fma_f32 v23, v19, s6, -v22
	v_fmac_f32_e32 v22, 0x3ed4b147, v19
	v_mul_f32_e32 v26, 0xbf4178ce, v18
	v_add_f32_e32 v22, v22, v34
	v_fma_f32 v27, v19, s7, -v26
	v_fmac_f32_e32 v26, 0xbf27a4f4, v19
	v_mul_f32_e32 v34, 0x3e903f40, v18
	v_add_f32_e32 v23, v23, v35
	v_add_f32_e32 v26, v26, v48
	v_fma_f32 v35, v19, s11, -v34
	v_fmac_f32_e32 v34, 0xbf75a155, v19
	v_mul_f32_e32 v48, 0x3f7d64f0, v18
	v_mul_f32_e32 v18, 0x3f0a6770, v18
	v_sub_f32_e32 v12, v12, v14
	v_add_f32_e32 v34, v34, v50
	v_fma_f32 v50, v19, s14, -v18
	v_fmac_f32_e32 v18, 0x3f575c64, v19
	v_add_f32_e32 v13, v13, v15
	v_mul_f32_e32 v14, 0xbf7d64f0, v12
	v_add_f32_e32 v17, v18, v17
	v_fma_f32 v15, v13, s10, -v14
	v_fmac_f32_e32 v14, 0xbe11bafb, v13
	v_mul_f32_e32 v18, 0x3e903f40, v12
	v_add_f32_e32 v27, v27, v49
	v_fma_f32 v49, v19, s10, -v48
	v_fmac_f32_e32 v48, 0xbe11bafb, v19
	v_add_f32_e32 v14, v14, v22
	v_fma_f32 v19, v13, s11, -v18
	v_fmac_f32_e32 v18, 0xbf75a155, v13
	v_mul_f32_e32 v22, 0x3f68dda4, v12
	v_sub_f32_e32 v8, v8, v10
	v_add_f32_e32 v15, v15, v23
	v_add_f32_e32 v18, v18, v26
	v_fma_f32 v23, v13, s6, -v22
	v_fmac_f32_e32 v22, 0x3ed4b147, v13
	v_mul_f32_e32 v26, 0xbf0a6770, v12
	v_mul_f32_e32 v12, 0xbf4178ce, v12
	v_add_f32_e32 v9, v9, v11
	v_mul_f32_e32 v10, 0xbf4178ce, v8
	v_add_f32_e32 v19, v19, v27
	v_add_f32_e32 v22, v22, v34
	v_fma_f32 v27, v13, s14, -v26
	v_fmac_f32_e32 v26, 0x3f575c64, v13
	v_fma_f32 v34, v13, s7, -v12
	v_fmac_f32_e32 v12, 0xbf27a4f4, v13
	v_fma_f32 v11, v9, s7, -v10
	v_fmac_f32_e32 v10, 0xbf27a4f4, v9
	v_mul_f32_e32 v13, 0x3f7d64f0, v8
	v_add_f32_e32 v11, v11, v15
	v_add_f32_e32 v10, v10, v14
	v_fma_f32 v14, v9, s10, -v13
	v_fmac_f32_e32 v13, 0xbe11bafb, v9
	v_mul_f32_e32 v15, 0xbf0a6770, v8
	v_add_f32_e32 v12, v12, v17
	v_add_f32_e32 v13, v13, v18
	v_fma_f32 v17, v9, s14, -v15
	v_fmac_f32_e32 v15, 0x3f575c64, v9
	v_mul_f32_e32 v18, 0xbe903f40, v8
	v_mul_f32_e32 v8, 0x3f68dda4, v8
	v_add_f32_e32 v14, v14, v19
	v_add_f32_e32 v15, v15, v22
	v_fma_f32 v19, v9, s11, -v18
	v_fmac_f32_e32 v18, 0xbf75a155, v9
	v_fma_f32 v22, v9, s6, -v8
	v_fmac_f32_e32 v8, 0x3ed4b147, v9
	v_sub_f32_e32 v9, v4, v6
	v_add_f32_e32 v5, v5, v7
	v_mul_f32_e32 v4, 0xbe903f40, v9
	v_fma_f32 v6, v5, s11, -v4
	v_add_f32_e32 v11, v6, v11
	v_mul_f32_e32 v6, 0x3f0a6770, v9
	v_add_f32_e32 v35, v35, v51
	v_add_f32_e32 v49, v49, v53
	;; [unrolled: 1-line block ×3, first 2 shown]
	v_fmac_f32_e32 v4, 0xbf75a155, v5
	v_fma_f32 v7, v5, s14, -v6
	v_fmac_f32_e32 v6, 0x3f575c64, v5
	v_add_f32_e32 v50, v50, v54
	v_add_f32_e32 v23, v23, v35
	v_add_f32_e32 v27, v27, v49
	v_add_f32_e32 v26, v26, v48
	v_add_f32_e32 v4, v4, v10
	v_add_f32_e32 v10, v7, v14
	v_add_f32_e32 v7, v6, v13
	v_mul_f32_e32 v6, 0xbf4178ce, v9
	v_mul_f32_e32 v13, 0x3f68dda4, v9
	v_add_f32_e32 v34, v34, v50
	v_add_f32_e32 v17, v17, v23
	v_add_f32_e32 v19, v19, v27
	v_add_f32_e32 v18, v18, v26
	v_add_f32_e32 v8, v8, v12
	v_fma_f32 v12, v5, s7, -v6
	v_fma_f32 v14, v5, s6, -v13
	v_fmac_f32_e32 v13, 0x3ed4b147, v5
	v_mul_f32_e32 v9, 0xbf7d64f0, v9
	v_add_f32_e32 v22, v22, v34
	v_add_f32_e32 v12, v12, v17
	v_fmac_f32_e32 v6, 0xbf27a4f4, v5
	v_add_f32_e32 v14, v14, v19
	v_add_f32_e32 v17, v13, v18
	v_fma_f32 v13, v5, s10, -v9
	v_fmac_f32_e32 v9, 0xbe11bafb, v5
	v_add_f32_e32 v6, v6, v15
	v_add_f32_e32 v13, v13, v22
	;; [unrolled: 1-line block ×3, first 2 shown]
	s_waitcnt lgkmcnt(0)
	s_barrier
	ds_write2_b32 v44, v47, v11 offset1:1
	ds_write2_b32 v44, v10, v12 offset0:2 offset1:3
	ds_write2_b32 v44, v14, v13 offset0:4 offset1:5
	;; [unrolled: 1-line block ×4, first 2 shown]
	ds_write_b32 v44, v4 offset:40
	s_waitcnt lgkmcnt(0)
	s_barrier
	ds_read_b32 v18, v39
	ds_read2_b32 v[14:15], v16 offset0:121 offset1:242
	ds_read2_b32 v[10:11], v45 offset0:107 offset1:228
	;; [unrolled: 1-line block ×3, first 2 shown]
                                        ; implicit-def: $vgpr13
	s_and_saveexec_b64 s[4:5], s[0:1]
	s_cbranch_execz .LBB0_16
; %bb.15:
	v_add3_u32 v4, 0, v41, v40
	ds_read_b32 v17, v4
	v_add_u32_e32 v4, 0x200, v16
	ds_read2_b32 v[6:7], v4 offset0:70 offset1:191
	v_add_u32_e32 v4, 0x600, v16
	v_add_u32_e32 v12, 0xa00, v16
	ds_read2_b32 v[4:5], v4 offset0:56 offset1:177
	ds_read2_b32 v[12:13], v12 offset0:42 offset1:163
.LBB0_16:
	s_or_b64 exec, exec, s[4:5]
	s_movk_i32 s4, 0x75
	v_mul_lo_u16_sdwa v19, v37, s4 dst_sel:DWORD dst_unused:UNUSED_PAD src0_sel:BYTE_0 src1_sel:DWORD
	v_sub_u16_sdwa v22, v37, v19 dst_sel:DWORD dst_unused:UNUSED_PAD src0_sel:DWORD src1_sel:BYTE_1
	v_lshrrev_b16_e32 v22, 1, v22
	v_and_b32_e32 v22, 0x7f, v22
	v_add_u16_sdwa v19, v22, v19 dst_sel:DWORD dst_unused:UNUSED_PAD src0_sel:DWORD src1_sel:BYTE_1
	v_lshrrev_b16_e32 v74, 3, v19
	v_mul_lo_u16_e32 v19, 11, v74
	v_sub_u16_e32 v75, v37, v19
	v_mov_b32_e32 v23, 6
	v_mul_u32_u24_sdwa v19, v75, v23 dst_sel:DWORD dst_unused:UNUSED_PAD src0_sel:BYTE_0 src1_sel:DWORD
	v_lshlrev_b32_e32 v22, 3, v19
	v_mul_lo_u16_sdwa v19, v38, s4 dst_sel:DWORD dst_unused:UNUSED_PAD src0_sel:BYTE_0 src1_sel:DWORD
	v_sub_u16_sdwa v26, v38, v19 dst_sel:DWORD dst_unused:UNUSED_PAD src0_sel:DWORD src1_sel:BYTE_1
	v_lshrrev_b16_e32 v26, 1, v26
	v_and_b32_e32 v26, 0x7f, v26
	v_add_u16_sdwa v19, v26, v19 dst_sel:DWORD dst_unused:UNUSED_PAD src0_sel:DWORD src1_sel:BYTE_1
	v_lshrrev_b16_e32 v19, 3, v19
	v_mul_lo_u16_e32 v26, 11, v19
	global_load_dwordx4 v[50:53], v22, s[8:9] offset:16
	global_load_dwordx4 v[54:57], v22, s[8:9]
	global_load_dwordx4 v[58:61], v22, s[8:9] offset:32
	v_sub_u16_e32 v22, v38, v26
	v_mul_u32_u24_sdwa v23, v22, v23 dst_sel:DWORD dst_unused:UNUSED_PAD src0_sel:BYTE_0 src1_sel:DWORD
	v_lshlrev_b32_e32 v23, 3, v23
	global_load_dwordx4 v[62:65], v23, s[8:9]
	global_load_dwordx4 v[66:69], v23, s[8:9] offset:16
	global_load_dwordx4 v[70:73], v23, s[8:9] offset:32
	s_mov_b32 s6, 0xbf5ff5aa
	s_mov_b32 s7, 0x3f3bfb3b
	;; [unrolled: 1-line block ×4, first 2 shown]
	s_movk_i32 s14, 0x134
	s_waitcnt vmcnt(0) lgkmcnt(0)
	s_barrier
	v_mul_f32_e32 v46, v10, v51
	v_mul_f32_e32 v44, v14, v55
	;; [unrolled: 1-line block ×13, first 2 shown]
	v_fmac_f32_e32 v44, v30, v54
	v_fmac_f32_e32 v45, v31, v56
	;; [unrolled: 1-line block ×4, first 2 shown]
	v_mul_f32_e32 v55, v30, v55
	v_mul_f32_e32 v61, v25, v61
	;; [unrolled: 1-line block ×7, first 2 shown]
	v_fma_f32 v31, v15, v56, -v57
	v_fmac_f32_e32 v46, v28, v50
	v_fma_f32 v10, v10, v50, -v51
	v_fmac_f32_e32 v47, v29, v52
	v_fma_f32 v28, v11, v52, -v53
	v_fma_f32 v8, v8, v58, -v59
	v_fmac_f32_e32 v23, v2, v62
	v_fma_f32 v15, v4, v66, -v67
	v_add_f32_e32 v2, v44, v49
	v_add_f32_e32 v4, v45, v48
	v_fma_f32 v30, v14, v54, -v55
	v_fma_f32 v9, v9, v60, -v61
	;; [unrolled: 1-line block ×4, first 2 shown]
	v_fmac_f32_e32 v27, v20, v66
	v_fmac_f32_e32 v34, v21, v68
	v_fma_f32 v20, v5, v68, -v69
	v_sub_f32_e32 v5, v31, v8
	v_add_f32_e32 v6, v46, v47
	v_sub_f32_e32 v7, v28, v10
	v_add_f32_e32 v21, v4, v2
	v_fmac_f32_e32 v26, v3, v64
	v_sub_f32_e32 v3, v30, v9
	v_sub_f32_e32 v24, v4, v2
	;; [unrolled: 1-line block ×4, first 2 shown]
	v_add_f32_e32 v25, v7, v5
	v_sub_f32_e32 v29, v7, v5
	v_add_f32_e32 v6, v6, v21
	v_mul_f32_e32 v38, v13, v73
	v_sub_f32_e32 v7, v3, v7
	v_sub_f32_e32 v5, v5, v3
	v_add_f32_e32 v3, v25, v3
	v_mul_f32_e32 v25, 0x3f08b237, v29
	v_add_f32_e32 v29, v43, v6
	v_mul_f32_e32 v35, v12, v71
	v_mul_f32_e32 v73, v33, v73
	v_fmac_f32_e32 v38, v33, v72
	v_mul_f32_e32 v2, 0x3f4a47b2, v2
	v_mul_f32_e32 v21, 0x3d64c772, v4
	v_mov_b32_e32 v33, v29
	v_mul_f32_e32 v71, v32, v71
	v_fmac_f32_e32 v35, v32, v70
	v_mul_f32_e32 v32, 0xbf5ff5aa, v5
	v_fmac_f32_e32 v33, 0xbf955555, v6
	v_fma_f32 v6, v24, s7, -v21
	v_fma_f32 v21, v24, s10, -v2
	v_fmac_f32_e32 v2, 0x3d64c772, v4
	v_fma_f32 v4, v5, s6, -v25
	v_fmac_f32_e32 v25, 0xbeae86e6, v7
	v_fma_f32 v5, v7, s11, -v32
	v_add_f32_e32 v2, v2, v33
	v_add_f32_e32 v6, v6, v33
	v_fmac_f32_e32 v25, 0xbee1c552, v3
	v_fmac_f32_e32 v4, 0xbee1c552, v3
	v_add_f32_e32 v7, v21, v33
	v_fmac_f32_e32 v5, 0xbee1c552, v3
	v_add_f32_e32 v3, v25, v2
	v_sub_f32_e32 v32, v6, v4
	v_add_f32_e32 v4, v4, v6
	v_sub_f32_e32 v6, v2, v25
	v_mov_b32_e32 v2, 2
	v_add_f32_e32 v21, v5, v7
	v_sub_f32_e32 v5, v7, v5
	v_mad_u32_u24 v7, v74, s14, 0
	v_lshlrev_b32_sdwa v24, v2, v75 dst_sel:DWORD dst_unused:UNUSED_PAD src0_sel:DWORD src1_sel:BYTE_0
	v_fma_f32 v12, v12, v70, -v71
	v_fma_f32 v13, v13, v72, -v73
	v_add3_u32 v24, v7, v24, v40
	ds_write2_b32 v24, v29, v3 offset1:11
	ds_write2_b32 v24, v21, v32 offset0:22 offset1:33
	ds_write2_b32 v24, v4, v5 offset0:44 offset1:55
	ds_write_b32 v24, v6 offset:264
	s_and_saveexec_b64 s[4:5], s[0:1]
	s_cbranch_execz .LBB0_18
; %bb.17:
	v_add_f32_e32 v3, v23, v38
	v_add_f32_e32 v4, v27, v34
	v_sub_f32_e32 v5, v3, v4
	v_mul_f32_e32 v5, 0x3f4a47b2, v5
	v_add_f32_e32 v6, v26, v35
	v_sub_f32_e32 v7, v4, v6
	v_mov_b32_e32 v25, v5
	v_mul_f32_e32 v21, 0x3d64c772, v7
	v_fmac_f32_e32 v25, 0x3d64c772, v7
	v_add_f32_e32 v7, v6, v3
	v_add_f32_e32 v4, v4, v7
	;; [unrolled: 1-line block ×3, first 2 shown]
	v_mov_b32_e32 v29, v7
	v_fmac_f32_e32 v29, 0xbf955555, v4
	v_sub_f32_e32 v32, v20, v15
	v_sub_f32_e32 v42, v14, v12
	v_add_f32_e32 v4, v25, v29
	v_sub_f32_e32 v25, v11, v13
	v_sub_f32_e32 v43, v32, v42
	;; [unrolled: 1-line block ×3, first 2 shown]
	v_mul_f32_e32 v43, 0x3f08b237, v43
	v_add_f32_e32 v32, v32, v42
	v_sub_f32_e32 v3, v6, v3
	v_sub_f32_e32 v6, v42, v25
	v_mov_b32_e32 v50, v43
	v_add_f32_e32 v32, v32, v25
	v_fma_f32 v5, v3, s10, -v5
	v_mul_f32_e32 v25, 0xbf5ff5aa, v6
	v_fma_f32 v6, v6, s6, -v43
	v_fma_f32 v3, v3, s7, -v21
	v_fmac_f32_e32 v50, 0xbeae86e6, v33
	v_fmac_f32_e32 v6, 0xbee1c552, v32
	v_add_f32_e32 v3, v3, v29
	v_fmac_f32_e32 v50, 0xbee1c552, v32
	v_fma_f32 v25, v33, s11, -v25
	v_add_f32_e32 v21, v6, v3
	v_sub_f32_e32 v3, v3, v6
	v_mad_u32_u24 v6, v19, s14, 0
	v_lshlrev_b32_sdwa v2, v2, v22 dst_sel:DWORD dst_unused:UNUSED_PAD src0_sel:DWORD src1_sel:BYTE_0
	v_sub_f32_e32 v51, v4, v50
	v_add_f32_e32 v5, v5, v29
	v_fmac_f32_e32 v25, 0xbee1c552, v32
	v_add_f32_e32 v4, v50, v4
	v_add3_u32 v2, v6, v2, v40
	v_sub_f32_e32 v33, v5, v25
	v_add_f32_e32 v5, v25, v5
	ds_write2_b32 v2, v7, v4 offset1:11
	ds_write2_b32 v2, v5, v3 offset0:22 offset1:33
	ds_write2_b32 v2, v21, v33 offset0:44 offset1:55
	ds_write_b32 v2, v51 offset:264
.LBB0_18:
	s_or_b64 exec, exec, s[4:5]
	v_add_f32_e32 v2, v30, v9
	v_add_f32_e32 v4, v31, v8
	;; [unrolled: 1-line block ×4, first 2 shown]
	v_sub_f32_e32 v5, v45, v48
	v_sub_f32_e32 v7, v47, v46
	;; [unrolled: 1-line block ×5, first 2 shown]
	v_add_f32_e32 v6, v6, v8
	v_sub_f32_e32 v3, v44, v49
	v_add_f32_e32 v10, v7, v5
	v_sub_f32_e32 v21, v7, v5
	;; [unrolled: 2-line block ×3, first 2 shown]
	v_sub_f32_e32 v5, v5, v3
	v_add_f32_e32 v3, v10, v3
	v_mul_f32_e32 v2, 0x3f4a47b2, v2
	v_mul_f32_e32 v8, 0x3d64c772, v4
	;; [unrolled: 1-line block ×3, first 2 shown]
	v_mov_b32_e32 v21, v28
	v_mul_f32_e32 v18, 0xbf5ff5aa, v5
	v_fmac_f32_e32 v21, 0xbf955555, v6
	v_fma_f32 v6, v9, s7, -v8
	v_fma_f32 v8, v9, s10, -v2
	v_fmac_f32_e32 v2, 0x3d64c772, v4
	v_fma_f32 v4, v5, s6, -v10
	v_fmac_f32_e32 v10, 0xbeae86e6, v7
	v_fma_f32 v5, v7, s11, -v18
	v_add_f32_e32 v2, v2, v21
	v_add_f32_e32 v6, v6, v21
	v_fmac_f32_e32 v10, 0xbee1c552, v3
	v_fmac_f32_e32 v4, 0xbee1c552, v3
	v_add_f32_e32 v7, v8, v21
	v_fmac_f32_e32 v5, 0xbee1c552, v3
	v_sub_f32_e32 v29, v2, v10
	v_add_f32_e32 v31, v4, v6
	v_sub_f32_e32 v32, v6, v4
	v_add_f32_e32 v42, v10, v2
	v_add_u32_e32 v2, 0x400, v16
	v_add_u32_e32 v4, 0x600, v16
	;; [unrolled: 1-line block ×3, first 2 shown]
	v_sub_f32_e32 v30, v7, v5
	v_add_f32_e32 v33, v5, v7
	s_waitcnt lgkmcnt(0)
	s_barrier
	ds_read_b32 v10, v39
	v_add3_u32 v25, 0, v41, v40
	ds_read2_b32 v[6:7], v16 offset0:154 offset1:231
	ds_read2_b32 v[2:3], v2 offset0:52 offset1:129
	;; [unrolled: 1-line block ×4, first 2 shown]
	ds_read_b32 v18, v25
	ds_read_b32 v21, v16 offset:3080
	s_waitcnt lgkmcnt(0)
	s_barrier
	ds_write2_b32 v24, v28, v29 offset1:11
	ds_write2_b32 v24, v30, v31 offset0:22 offset1:33
	ds_write2_b32 v24, v32, v33 offset0:44 offset1:55
	ds_write_b32 v24, v42 offset:264
	s_and_saveexec_b64 s[4:5], s[0:1]
	s_cbranch_execz .LBB0_20
; %bb.19:
	v_add_f32_e32 v11, v11, v13
	v_add_f32_e32 v12, v14, v12
	v_sub_f32_e32 v13, v23, v38
	v_add_f32_e32 v15, v15, v20
	v_add_f32_e32 v23, v12, v11
	v_sub_f32_e32 v24, v12, v11
	v_sub_f32_e32 v11, v11, v15
	v_sub_f32_e32 v12, v15, v12
	v_add_f32_e32 v15, v15, v23
	v_sub_f32_e32 v14, v26, v35
	v_sub_f32_e32 v20, v34, v27
	v_add_f32_e32 v17, v17, v15
	v_add_f32_e32 v26, v20, v14
	v_sub_f32_e32 v27, v20, v14
	v_mul_f32_e32 v23, 0x3d64c772, v12
	v_mov_b32_e32 v28, v17
	s_mov_b32 s1, 0x3f3bfb3b
	v_sub_f32_e32 v20, v13, v20
	v_sub_f32_e32 v14, v14, v13
	v_add_f32_e32 v13, v26, v13
	v_mul_f32_e32 v11, 0x3f4a47b2, v11
	v_mul_f32_e32 v26, 0x3f08b237, v27
	s_mov_b32 s0, 0xbf5ff5aa
	v_fmac_f32_e32 v28, 0xbf955555, v15
	v_fma_f32 v15, v24, s1, -v23
	s_mov_b32 s1, 0xbf3bfb3b
	v_mul_f32_e32 v27, 0xbf5ff5aa, v14
	v_fma_f32 v23, v24, s1, -v11
	v_fmac_f32_e32 v11, 0x3d64c772, v12
	v_fma_f32 v12, v14, s0, -v26
	s_mov_b32 s0, 0x3eae86e6
	v_fma_f32 v14, v20, s0, -v27
	v_add_f32_e32 v15, v15, v28
	v_fmac_f32_e32 v12, 0xbee1c552, v13
	s_movk_i32 s0, 0x134
	v_fmac_f32_e32 v26, 0xbeae86e6, v20
	v_add_f32_e32 v24, v12, v15
	v_sub_f32_e32 v12, v15, v12
	v_mad_u32_u24 v15, v19, s0, 0
	v_mov_b32_e32 v19, 2
	v_add_f32_e32 v11, v11, v28
	v_fmac_f32_e32 v26, 0xbee1c552, v13
	v_lshlrev_b32_sdwa v19, v19, v22 dst_sel:DWORD dst_unused:UNUSED_PAD src0_sel:DWORD src1_sel:BYTE_0
	v_add_f32_e32 v20, v23, v28
	v_fmac_f32_e32 v14, 0xbee1c552, v13
	v_sub_f32_e32 v13, v11, v26
	v_add3_u32 v15, v15, v19, v40
	v_sub_f32_e32 v23, v20, v14
	v_add_f32_e32 v14, v14, v20
	v_add_f32_e32 v11, v26, v11
	ds_write2_b32 v15, v17, v13 offset1:11
	ds_write2_b32 v15, v23, v24 offset0:22 offset1:33
	ds_write2_b32 v15, v12, v14 offset0:44 offset1:55
	ds_write_b32 v15, v11 offset:264
.LBB0_20:
	s_or_b64 exec, exec, s[4:5]
	s_waitcnt lgkmcnt(0)
	s_barrier
	s_and_saveexec_b64 s[0:1], vcc
	s_cbranch_execz .LBB0_22
; %bb.21:
	v_mul_u32_u24_e32 v11, 10, v37
	v_lshlrev_b32_e32 v15, 3, v11
	global_load_dwordx4 v[11:14], v15, s[8:9] offset:528
	global_load_dwordx4 v[26:29], v15, s[8:9] offset:592
	;; [unrolled: 1-line block ×5, first 2 shown]
	ds_read_b32 v17, v25
	ds_read_b32 v34, v16 offset:3080
	ds_read_b32 v35, v39
	ds_read2_b32 v[19:20], v16 offset0:154 offset1:231
	v_add_u32_e32 v15, 0x800, v16
	v_add_u32_e32 v22, 0x400, v16
	;; [unrolled: 1-line block ×3, first 2 shown]
	ds_read2_b32 v[15:16], v15 offset0:104 offset1:181
	ds_read2_b32 v[22:23], v22 offset0:52 offset1:129
	;; [unrolled: 1-line block ×3, first 2 shown]
	s_mov_b32 s0, 0x3ed4b147
	s_mov_b32 s1, 0xbf27a4f4
	;; [unrolled: 1-line block ×5, first 2 shown]
	s_waitcnt vmcnt(4)
	v_mul_f32_e32 v37, v18, v11
	s_waitcnt vmcnt(3)
	v_mul_f32_e32 v38, v21, v28
	v_mul_f32_e32 v39, v6, v13
	;; [unrolled: 1-line block ×3, first 2 shown]
	s_waitcnt lgkmcnt(6)
	v_fmac_f32_e32 v37, v17, v12
	s_waitcnt lgkmcnt(5)
	v_fmac_f32_e32 v38, v34, v29
	v_mul_f32_e32 v21, v21, v29
	v_mul_f32_e32 v18, v18, v12
	s_waitcnt vmcnt(2)
	v_mul_f32_e32 v49, v7, v30
	s_waitcnt vmcnt(1)
	v_mul_f32_e32 v50, v8, v42
	v_mul_f32_e32 v8, v8, v43
	;; [unrolled: 1-line block ×3, first 2 shown]
	s_waitcnt lgkmcnt(3)
	v_fmac_f32_e32 v39, v19, v14
	s_waitcnt lgkmcnt(2)
	v_fmac_f32_e32 v48, v16, v27
	v_sub_f32_e32 v29, v37, v38
	v_mul_f32_e32 v9, v9, v27
	v_mul_f32_e32 v6, v6, v14
	;; [unrolled: 1-line block ×5, first 2 shown]
	v_fma_f32 v21, v34, v28, -v21
	v_fma_f32 v28, v17, v11, -v18
	v_fmac_f32_e32 v49, v20, v31
	v_fmac_f32_e32 v50, v15, v43
	v_fma_f32 v27, v15, v42, -v8
	v_fma_f32 v20, v20, v30, -v7
	v_sub_f32_e32 v30, v39, v48
	v_mul_f32_e32 v15, 0xbf68dda4, v29
	s_waitcnt vmcnt(0)
	v_mul_f32_e32 v53, v3, v44
	v_mul_f32_e32 v54, v4, v46
	;; [unrolled: 1-line block ×3, first 2 shown]
	v_fma_f32 v26, v16, v26, -v9
	v_fma_f32 v19, v19, v13, -v6
	s_waitcnt lgkmcnt(1)
	v_fmac_f32_e32 v51, v22, v33
	s_waitcnt lgkmcnt(0)
	v_fmac_f32_e32 v52, v25, v41
	v_fma_f32 v22, v22, v32, -v2
	v_add_f32_e32 v17, v28, v21
	v_sub_f32_e32 v31, v49, v50
	v_mul_f32_e32 v16, 0xbf4178ce, v30
	v_mov_b32_e32 v2, v15
	v_mul_f32_e32 v5, v5, v41
	v_mul_f32_e32 v4, v4, v47
	v_fmac_f32_e32 v53, v23, v45
	v_fmac_f32_e32 v54, v24, v47
	v_fma_f32 v23, v23, v44, -v3
	v_add_f32_e32 v18, v19, v26
	v_sub_f32_e32 v33, v51, v52
	v_mul_f32_e32 v43, 0x3e903f40, v31
	v_mov_b32_e32 v3, v16
	v_fmac_f32_e32 v2, 0x3ed4b147, v17
	v_fma_f32 v25, v25, v40, -v5
	v_fma_f32 v24, v24, v46, -v4
	v_add_f32_e32 v32, v20, v27
	v_sub_f32_e32 v40, v53, v54
	v_mul_f32_e32 v44, 0x3f7d64f0, v33
	v_mov_b32_e32 v4, v43
	v_fmac_f32_e32 v3, 0xbf27a4f4, v18
	v_add_f32_e32 v2, v35, v2
	v_add_f32_e32 v34, v22, v25
	v_mul_f32_e32 v45, 0x3f0a6770, v40
	v_mov_b32_e32 v5, v44
	v_fmac_f32_e32 v4, 0xbf75a155, v32
	v_add_f32_e32 v2, v2, v3
	v_add_f32_e32 v41, v23, v24
	v_mov_b32_e32 v6, v45
	v_fmac_f32_e32 v5, 0xbe11bafb, v34
	v_add_f32_e32 v2, v2, v4
	v_sub_f32_e32 v46, v28, v21
	v_add_f32_e32 v42, v37, v38
	v_fmac_f32_e32 v6, 0x3f575c64, v41
	v_add_f32_e32 v2, v2, v5
	v_mul_f32_e32 v47, 0xbf68dda4, v46
	v_sub_f32_e32 v56, v19, v26
	v_add_f32_e32 v3, v2, v6
	v_fma_f32 v2, v42, s0, -v47
	v_add_f32_e32 v55, v39, v48
	v_mul_f32_e32 v57, 0xbf4178ce, v56
	v_sub_f32_e32 v59, v20, v27
	v_add_f32_e32 v2, v10, v2
	v_fma_f32 v4, v55, s1, -v57
	;; [unrolled: 5-line block ×4, first 2 shown]
	v_add_f32_e32 v64, v53, v54
	v_mul_f32_e32 v66, 0x3f0a6770, v65
	v_add_f32_e32 v2, v2, v4
	v_fma_f32 v4, v64, s6, -v66
	v_mul_f32_e32 v13, 0xbf7d64f0, v29
	v_add_f32_e32 v2, v2, v4
	v_mov_b32_e32 v4, v13
	v_mul_f32_e32 v14, 0x3e903f40, v30
	v_fmac_f32_e32 v4, 0xbe11bafb, v17
	v_mov_b32_e32 v5, v14
	v_add_f32_e32 v4, v35, v4
	v_fmac_f32_e32 v5, 0xbf75a155, v18
	v_mul_f32_e32 v67, 0x3f68dda4, v31
	v_add_f32_e32 v4, v4, v5
	v_mov_b32_e32 v5, v67
	v_fmac_f32_e32 v5, 0x3ed4b147, v32
	v_mul_f32_e32 v68, 0xbf0a6770, v33
	v_add_f32_e32 v4, v4, v5
	v_mov_b32_e32 v5, v68
	v_fmac_f32_e32 v5, 0x3f575c64, v34
	v_mul_f32_e32 v69, 0xbf7d64f0, v46
	v_add_f32_e32 v4, v4, v5
	v_fma_f32 v5, v42, s5, -v69
	v_mul_f32_e32 v70, 0x3e903f40, v56
	v_add_f32_e32 v5, v10, v5
	v_fma_f32 v6, v55, s4, -v70
	;; [unrolled: 3-line block ×4, first 2 shown]
	v_mul_f32_e32 v73, 0xbf4178ce, v40
	v_add_f32_e32 v6, v5, v6
	v_mov_b32_e32 v5, v73
	v_fmac_f32_e32 v5, 0xbf27a4f4, v41
	v_mul_f32_e32 v74, 0xbf4178ce, v65
	v_add_f32_e32 v5, v4, v5
	v_fma_f32 v4, v64, s1, -v74
	v_mul_f32_e32 v11, 0xbf4178ce, v29
	v_add_f32_e32 v4, v6, v4
	v_mov_b32_e32 v6, v11
	v_mul_f32_e32 v12, 0x3f7d64f0, v30
	v_fmac_f32_e32 v6, 0xbf27a4f4, v17
	v_mov_b32_e32 v7, v12
	v_add_f32_e32 v6, v35, v6
	v_fmac_f32_e32 v7, 0xbe11bafb, v18
	v_mul_f32_e32 v75, 0xbf0a6770, v31
	v_add_f32_e32 v6, v6, v7
	v_mov_b32_e32 v7, v75
	v_fmac_f32_e32 v7, 0x3f575c64, v32
	v_mul_f32_e32 v76, 0xbe903f40, v33
	v_add_f32_e32 v6, v6, v7
	v_mov_b32_e32 v7, v76
	v_fmac_f32_e32 v7, 0xbf75a155, v34
	v_mul_f32_e32 v77, 0xbf4178ce, v46
	v_add_f32_e32 v6, v6, v7
	v_fma_f32 v7, v42, s1, -v77
	v_mul_f32_e32 v78, 0x3f7d64f0, v56
	v_add_f32_e32 v7, v10, v7
	v_fma_f32 v8, v55, s5, -v78
	;; [unrolled: 3-line block ×4, first 2 shown]
	v_mul_f32_e32 v81, 0x3f68dda4, v40
	v_add_f32_e32 v8, v7, v8
	v_mov_b32_e32 v7, v81
	v_fmac_f32_e32 v7, 0x3ed4b147, v41
	v_mul_f32_e32 v82, 0x3f68dda4, v65
	v_add_f32_e32 v7, v6, v7
	v_fma_f32 v6, v64, s0, -v82
	v_mul_f32_e32 v83, 0xbf75a155, v17
	v_add_f32_e32 v6, v8, v6
	v_mov_b32_e32 v8, v83
	v_mul_f32_e32 v84, 0x3f575c64, v18
	v_fma_f32 v15, v17, s0, -v15
	v_fmac_f32_e32 v8, 0x3e903f40, v29
	v_mov_b32_e32 v9, v84
	v_add_f32_e32 v15, v35, v15
	v_fma_f32 v16, v18, s1, -v16
	v_add_f32_e32 v8, v35, v8
	v_fmac_f32_e32 v9, 0xbf0a6770, v30
	v_mul_f32_e32 v85, 0xbf27a4f4, v32
	v_add_f32_e32 v15, v15, v16
	v_fma_f32 v16, v32, s4, -v43
	v_add_f32_e32 v8, v8, v9
	v_mov_b32_e32 v9, v85
	v_add_f32_e32 v15, v15, v16
	v_fma_f32 v16, v34, s5, -v44
	v_fmac_f32_e32 v47, 0x3ed4b147, v42
	v_fmac_f32_e32 v9, 0x3f4178ce, v31
	v_mul_f32_e32 v86, 0x3ed4b147, v34
	v_add_f32_e32 v15, v15, v16
	v_add_f32_e32 v16, v10, v47
	v_fmac_f32_e32 v57, 0xbf27a4f4, v55
	v_add_f32_e32 v28, v28, v35
	v_add_f32_e32 v8, v8, v9
	v_mov_b32_e32 v9, v86
	v_add_f32_e32 v16, v16, v57
	v_fmac_f32_e32 v60, 0xbf75a155, v58
	v_add_f32_e32 v19, v28, v19
	v_fmac_f32_e32 v9, 0xbf68dda4, v33
	v_mul_f32_e32 v87, 0xbe903f40, v46
	v_add_f32_e32 v16, v16, v60
	v_fmac_f32_e32 v63, 0xbe11bafb, v61
	v_add_f32_e32 v19, v19, v20
	v_add_f32_e32 v8, v8, v9
	v_mov_b32_e32 v9, v87
	v_mul_f32_e32 v88, 0x3f0a6770, v56
	v_add_f32_e32 v43, v16, v63
	v_fma_f32 v16, v41, s6, -v45
	v_fmac_f32_e32 v66, 0x3f575c64, v64
	v_add_f32_e32 v19, v19, v22
	v_fmac_f32_e32 v9, 0xbf75a155, v42
	v_mov_b32_e32 v89, v88
	v_add_f32_e32 v16, v15, v16
	v_add_f32_e32 v15, v43, v66
	v_mul_f32_e32 v43, 0x3f575c64, v17
	v_add_f32_e32 v19, v19, v23
	v_add_f32_e32 v9, v10, v9
	v_fmac_f32_e32 v89, 0x3f575c64, v55
	v_fma_f32 v11, v17, s1, -v11
	v_fma_f32 v13, v17, s5, -v13
	v_mov_b32_e32 v17, v43
	v_mul_f32_e32 v44, 0x3ed4b147, v18
	v_add_f32_e32 v19, v19, v24
	v_add_f32_e32 v9, v9, v89
	v_mul_f32_e32 v89, 0xbf4178ce, v59
	v_add_f32_e32 v11, v35, v11
	v_fma_f32 v12, v18, s5, -v12
	v_add_f32_e32 v13, v35, v13
	v_fma_f32 v14, v18, s4, -v14
	v_fmac_f32_e32 v17, 0x3f0a6770, v29
	v_mov_b32_e32 v18, v44
	v_add_f32_e32 v19, v25, v19
	v_add_f32_e32 v20, v10, v37
	v_mov_b32_e32 v90, v89
	v_add_f32_e32 v11, v11, v12
	v_fma_f32 v12, v32, s6, -v75
	v_add_f32_e32 v13, v13, v14
	v_fma_f32 v14, v32, s0, -v67
	v_add_f32_e32 v17, v35, v17
	v_fmac_f32_e32 v18, 0x3f68dda4, v30
	v_mul_f32_e32 v32, 0xbe11bafb, v32
	v_add_f32_e32 v19, v27, v19
	v_add_f32_e32 v20, v20, v39
	v_fmac_f32_e32 v90, 0xbf27a4f4, v58
	v_add_f32_e32 v17, v17, v18
	v_mov_b32_e32 v18, v32
	v_add_f32_e32 v19, v26, v19
	v_add_f32_e32 v20, v20, v49
	v_fmac_f32_e32 v83, 0xbe903f40, v29
	v_add_f32_e32 v9, v9, v90
	v_mul_f32_e32 v90, 0x3f68dda4, v62
	v_add_f32_e32 v11, v11, v12
	v_fma_f32 v12, v34, s4, -v76
	v_add_f32_e32 v13, v13, v14
	v_fma_f32 v14, v34, s6, -v68
	v_fmac_f32_e32 v18, 0x3f7d64f0, v31
	v_mul_f32_e32 v34, 0xbf27a4f4, v34
	v_add_f32_e32 v22, v20, v51
	v_add_f32_e32 v20, v21, v19
	;; [unrolled: 1-line block ×3, first 2 shown]
	v_fmac_f32_e32 v84, 0x3f0a6770, v30
	v_mov_b32_e32 v91, v90
	v_add_f32_e32 v17, v17, v18
	v_mov_b32_e32 v18, v34
	v_add_f32_e32 v21, v21, v84
	v_fmac_f32_e32 v85, 0xbf4178ce, v31
	v_fmac_f32_e32 v91, 0x3ed4b147, v61
	v_mul_f32_e32 v92, 0xbe11bafb, v41
	v_fmac_f32_e32 v18, 0x3f4178ce, v33
	v_mul_f32_e32 v45, 0xbf0a6770, v46
	v_add_f32_e32 v21, v21, v85
	v_fmac_f32_e32 v86, 0x3f68dda4, v33
	v_add_f32_e32 v91, v9, v91
	v_mov_b32_e32 v9, v92
	v_add_f32_e32 v17, v17, v18
	v_mov_b32_e32 v18, v45
	v_mul_f32_e32 v46, 0xbf68dda4, v56
	v_add_f32_e32 v21, v21, v86
	v_fmac_f32_e32 v92, 0xbf7d64f0, v40
	v_fmac_f32_e32 v18, 0x3f575c64, v42
	v_mov_b32_e32 v47, v46
	v_add_f32_e32 v19, v22, v53
	v_add_f32_e32 v22, v21, v92
	v_fma_f32 v21, v42, s4, -v87
	v_add_f32_e32 v18, v10, v18
	v_fmac_f32_e32 v47, 0x3ed4b147, v55
	v_add_f32_e32 v21, v10, v21
	v_fma_f32 v23, v55, s6, -v88
	v_add_f32_e32 v18, v18, v47
	v_mul_f32_e32 v47, 0xbf7d64f0, v59
	v_add_f32_e32 v21, v21, v23
	v_fma_f32 v23, v58, s1, -v89
	v_mul_f32_e32 v93, 0xbf7d64f0, v65
	v_fmac_f32_e32 v77, 0xbf27a4f4, v42
	v_fmac_f32_e32 v69, 0xbe11bafb, v42
	v_mov_b32_e32 v56, v47
	v_add_f32_e32 v21, v21, v23
	v_fma_f32 v23, v61, s0, -v90
	v_add_f32_e32 v11, v11, v12
	v_add_f32_e32 v12, v10, v77
	v_fmac_f32_e32 v78, 0xbe11bafb, v55
	v_add_f32_e32 v13, v13, v14
	v_add_f32_e32 v14, v10, v69
	v_fmac_f32_e32 v70, 0xbf75a155, v55
	v_fmac_f32_e32 v56, 0xbe11bafb, v58
	v_add_f32_e32 v21, v21, v23
	v_fma_f32 v23, v64, s5, -v93
	v_fmac_f32_e32 v43, 0xbf0a6770, v29
	v_add_f32_e32 v12, v12, v78
	v_fmac_f32_e32 v79, 0x3f575c64, v58
	v_add_f32_e32 v14, v14, v70
	;; [unrolled: 2-line block ×3, first 2 shown]
	v_mul_f32_e32 v56, 0xbf4178ce, v62
	v_add_f32_e32 v21, v21, v23
	v_add_f32_e32 v23, v35, v43
	v_fmac_f32_e32 v44, 0xbf68dda4, v30
	v_add_f32_e32 v12, v12, v79
	v_fmac_f32_e32 v80, 0xbf75a155, v61
	;; [unrolled: 2-line block ×3, first 2 shown]
	v_mov_b32_e32 v57, v56
	v_add_f32_e32 v23, v23, v44
	v_fmac_f32_e32 v32, 0xbf7d64f0, v31
	v_add_f32_e32 v75, v12, v80
	v_fma_f32 v12, v41, s0, -v81
	v_add_f32_e32 v67, v14, v72
	v_fma_f32 v14, v41, s1, -v73
	v_fmac_f32_e32 v57, 0xbf27a4f4, v61
	v_mul_f32_e32 v41, 0xbf75a155, v41
	v_add_f32_e32 v23, v23, v32
	v_fmac_f32_e32 v34, 0xbf4178ce, v33
	v_add_f32_e32 v57, v18, v57
	v_mov_b32_e32 v18, v41
	v_add_f32_e32 v23, v23, v34
	v_fmac_f32_e32 v41, 0xbe903f40, v40
	v_add_f32_e32 v24, v23, v41
	v_fma_f32 v23, v42, s6, -v45
	v_mad_u64_u32 v[25:26], s[6:7], s2, v36, 0
	v_add_f32_e32 v10, v10, v23
	v_fma_f32 v23, v55, s0, -v46
	v_fmac_f32_e32 v82, 0x3ed4b147, v64
	v_add_f32_e32 v10, v10, v23
	v_fma_f32 v23, v58, s5, -v47
	v_add_f32_e32 v12, v11, v12
	v_add_f32_e32 v11, v75, v82
	;; [unrolled: 1-line block ×3, first 2 shown]
	v_mov_b32_e32 v10, v26
	v_fma_f32 v28, v61, s1, -v56
	v_mad_u64_u32 v[26:27], s[0:1], s3, v36, v[10:11]
	v_mul_f32_e32 v59, 0xbe903f40, v65
	v_add_f32_e32 v10, v23, v28
	v_fma_f32 v23, v64, s4, -v59
	v_add_f32_e32 v23, v10, v23
	v_mov_b32_e32 v10, s13
	v_add_co_u32_e32 v29, vcc, s12, v0
	v_add_u32_e32 v27, 0x4d, v36
	v_addc_co_u32_e32 v30, vcc, v10, v1, vcc
	v_lshlrev_b64 v[0:1], 3, v[25:26]
	v_mad_u64_u32 v[25:26], s[0:1], s2, v27, 0
	v_add_u32_e32 v31, 0x9a, v36
	v_add_f32_e32 v19, v19, v54
	v_mov_b32_e32 v10, v26
	v_mad_u64_u32 v[26:27], s[0:1], s3, v27, v[10:11]
	v_mad_u64_u32 v[27:28], s[0:1], s2, v31, 0
	v_add_f32_e32 v19, v52, v19
	v_add_f32_e32 v19, v50, v19
	;; [unrolled: 1-line block ×3, first 2 shown]
	v_add_co_u32_e32 v0, vcc, v29, v0
	v_add_f32_e32 v19, v38, v19
	v_addc_co_u32_e32 v1, vcc, v30, v1, vcc
	v_mov_b32_e32 v10, v28
	global_store_dwordx2 v[0:1], v[19:20], off
	v_mad_u64_u32 v[19:20], s[0:1], s3, v31, v[10:11]
	v_fmac_f32_e32 v18, 0x3e903f40, v40
	v_lshlrev_b64 v[0:1], 3, v[25:26]
	v_add_f32_e32 v18, v17, v18
	v_mov_b32_e32 v17, v59
	v_fmac_f32_e32 v17, 0xbf75a155, v64
	v_add_co_u32_e32 v0, vcc, v29, v0
	v_add_f32_e32 v17, v57, v17
	v_addc_co_u32_e32 v1, vcc, v30, v1, vcc
	v_mov_b32_e32 v28, v19
	v_add_u32_e32 v19, 0xe7, v36
	global_store_dwordx2 v[0:1], v[17:18], off
	v_mad_u64_u32 v[17:18], s[0:1], s2, v19, 0
	v_add_u32_e32 v25, 0x134, v36
	v_lshlrev_b64 v[0:1], 3, v[27:28]
	v_mov_b32_e32 v10, v18
	v_mad_u64_u32 v[18:19], s[0:1], s3, v19, v[10:11]
	v_mad_u64_u32 v[19:20], s[0:1], s2, v25, 0
	v_add_co_u32_e32 v0, vcc, v29, v0
	v_addc_co_u32_e32 v1, vcc, v30, v1, vcc
	v_mov_b32_e32 v10, v20
	global_store_dwordx2 v[0:1], v[15:16], off
	v_mad_u64_u32 v[15:16], s[0:1], s3, v25, v[10:11]
	v_lshlrev_b64 v[0:1], 3, v[17:18]
	v_fmac_f32_e32 v74, 0xbf27a4f4, v64
	v_add_co_u32_e32 v0, vcc, v29, v0
	v_add_f32_e32 v14, v13, v14
	v_add_f32_e32 v13, v67, v74
	v_addc_co_u32_e32 v1, vcc, v30, v1, vcc
	v_mov_b32_e32 v20, v15
	v_add_u32_e32 v15, 0x181, v36
	global_store_dwordx2 v[0:1], v[13:14], off
	v_mad_u64_u32 v[13:14], s[0:1], s2, v15, 0
	v_add_u32_e32 v17, 0x1ce, v36
	v_lshlrev_b64 v[0:1], 3, v[19:20]
	v_mov_b32_e32 v10, v14
	v_mad_u64_u32 v[14:15], s[0:1], s3, v15, v[10:11]
	v_mad_u64_u32 v[15:16], s[0:1], s2, v17, 0
	v_add_co_u32_e32 v0, vcc, v29, v0
	v_addc_co_u32_e32 v1, vcc, v30, v1, vcc
	v_mov_b32_e32 v10, v16
	global_store_dwordx2 v[0:1], v[11:12], off
	v_mad_u64_u32 v[10:11], s[0:1], s3, v17, v[10:11]
	v_fmac_f32_e32 v9, 0x3f7d64f0, v40
	v_lshlrev_b64 v[0:1], 3, v[13:14]
	v_add_f32_e32 v9, v8, v9
	v_mov_b32_e32 v8, v93
	v_fmac_f32_e32 v8, 0xbe11bafb, v64
	v_add_co_u32_e32 v0, vcc, v29, v0
	v_add_f32_e32 v8, v91, v8
	v_addc_co_u32_e32 v1, vcc, v30, v1, vcc
	v_mov_b32_e32 v16, v10
	v_add_u32_e32 v10, 0x21b, v36
	global_store_dwordx2 v[0:1], v[8:9], off
	v_mad_u64_u32 v[8:9], s[0:1], s2, v10, 0
	v_add_u32_e32 v12, 0x268, v36
	v_lshlrev_b64 v[0:1], 3, v[15:16]
	v_mad_u64_u32 v[9:10], s[0:1], s3, v10, v[9:10]
	v_mad_u64_u32 v[10:11], s[0:1], s2, v12, 0
	v_add_co_u32_e32 v0, vcc, v29, v0
	v_addc_co_u32_e32 v1, vcc, v30, v1, vcc
	global_store_dwordx2 v[0:1], v[21:22], off
	v_lshlrev_b64 v[0:1], 3, v[8:9]
	v_mov_b32_e32 v8, v11
	v_mad_u64_u32 v[8:9], s[0:1], s3, v12, v[8:9]
	v_add_co_u32_e32 v0, vcc, v29, v0
	v_addc_co_u32_e32 v1, vcc, v30, v1, vcc
	v_mov_b32_e32 v11, v8
	v_add_u32_e32 v8, 0x2b5, v36
	global_store_dwordx2 v[0:1], v[6:7], off
	v_mad_u64_u32 v[6:7], s[0:1], s2, v8, 0
	v_lshlrev_b64 v[0:1], 3, v[10:11]
	v_add_u32_e32 v10, 0x302, v36
	v_mad_u64_u32 v[7:8], s[0:1], s3, v8, v[7:8]
	v_mad_u64_u32 v[8:9], s[0:1], s2, v10, 0
	v_add_co_u32_e32 v0, vcc, v29, v0
	v_addc_co_u32_e32 v1, vcc, v30, v1, vcc
	global_store_dwordx2 v[0:1], v[4:5], off
	v_mov_b32_e32 v4, v9
	v_mad_u64_u32 v[4:5], s[0:1], s3, v10, v[4:5]
	v_lshlrev_b64 v[0:1], 3, v[6:7]
	v_add_co_u32_e32 v0, vcc, v29, v0
	v_addc_co_u32_e32 v1, vcc, v30, v1, vcc
	v_mov_b32_e32 v9, v4
	global_store_dwordx2 v[0:1], v[2:3], off
	v_lshlrev_b64 v[0:1], 3, v[8:9]
	v_add_co_u32_e32 v0, vcc, v29, v0
	v_addc_co_u32_e32 v1, vcc, v30, v1, vcc
	global_store_dwordx2 v[0:1], v[23:24], off
.LBB0_22:
	s_endpgm
	.section	.rodata,"a",@progbits
	.p2align	6, 0x0
	.amdhsa_kernel fft_rtc_back_len847_factors_11_7_11_wgs_231_tpt_77_halfLds_sp_ip_CI_sbrr_dirReg
		.amdhsa_group_segment_fixed_size 0
		.amdhsa_private_segment_fixed_size 0
		.amdhsa_kernarg_size 88
		.amdhsa_user_sgpr_count 6
		.amdhsa_user_sgpr_private_segment_buffer 1
		.amdhsa_user_sgpr_dispatch_ptr 0
		.amdhsa_user_sgpr_queue_ptr 0
		.amdhsa_user_sgpr_kernarg_segment_ptr 1
		.amdhsa_user_sgpr_dispatch_id 0
		.amdhsa_user_sgpr_flat_scratch_init 0
		.amdhsa_user_sgpr_private_segment_size 0
		.amdhsa_uses_dynamic_stack 0
		.amdhsa_system_sgpr_private_segment_wavefront_offset 0
		.amdhsa_system_sgpr_workgroup_id_x 1
		.amdhsa_system_sgpr_workgroup_id_y 0
		.amdhsa_system_sgpr_workgroup_id_z 0
		.amdhsa_system_sgpr_workgroup_info 0
		.amdhsa_system_vgpr_workitem_id 0
		.amdhsa_next_free_vgpr 94
		.amdhsa_next_free_sgpr 24
		.amdhsa_reserve_vcc 1
		.amdhsa_reserve_flat_scratch 0
		.amdhsa_float_round_mode_32 0
		.amdhsa_float_round_mode_16_64 0
		.amdhsa_float_denorm_mode_32 3
		.amdhsa_float_denorm_mode_16_64 3
		.amdhsa_dx10_clamp 1
		.amdhsa_ieee_mode 1
		.amdhsa_fp16_overflow 0
		.amdhsa_exception_fp_ieee_invalid_op 0
		.amdhsa_exception_fp_denorm_src 0
		.amdhsa_exception_fp_ieee_div_zero 0
		.amdhsa_exception_fp_ieee_overflow 0
		.amdhsa_exception_fp_ieee_underflow 0
		.amdhsa_exception_fp_ieee_inexact 0
		.amdhsa_exception_int_div_zero 0
	.end_amdhsa_kernel
	.text
.Lfunc_end0:
	.size	fft_rtc_back_len847_factors_11_7_11_wgs_231_tpt_77_halfLds_sp_ip_CI_sbrr_dirReg, .Lfunc_end0-fft_rtc_back_len847_factors_11_7_11_wgs_231_tpt_77_halfLds_sp_ip_CI_sbrr_dirReg
                                        ; -- End function
	.section	.AMDGPU.csdata,"",@progbits
; Kernel info:
; codeLenInByte = 8832
; NumSgprs: 28
; NumVgprs: 94
; ScratchSize: 0
; MemoryBound: 0
; FloatMode: 240
; IeeeMode: 1
; LDSByteSize: 0 bytes/workgroup (compile time only)
; SGPRBlocks: 3
; VGPRBlocks: 23
; NumSGPRsForWavesPerEU: 28
; NumVGPRsForWavesPerEU: 94
; Occupancy: 2
; WaveLimiterHint : 1
; COMPUTE_PGM_RSRC2:SCRATCH_EN: 0
; COMPUTE_PGM_RSRC2:USER_SGPR: 6
; COMPUTE_PGM_RSRC2:TRAP_HANDLER: 0
; COMPUTE_PGM_RSRC2:TGID_X_EN: 1
; COMPUTE_PGM_RSRC2:TGID_Y_EN: 0
; COMPUTE_PGM_RSRC2:TGID_Z_EN: 0
; COMPUTE_PGM_RSRC2:TIDIG_COMP_CNT: 0
	.type	__hip_cuid_e2f7418180b3e730,@object ; @__hip_cuid_e2f7418180b3e730
	.section	.bss,"aw",@nobits
	.globl	__hip_cuid_e2f7418180b3e730
__hip_cuid_e2f7418180b3e730:
	.byte	0                               ; 0x0
	.size	__hip_cuid_e2f7418180b3e730, 1

	.ident	"AMD clang version 19.0.0git (https://github.com/RadeonOpenCompute/llvm-project roc-6.4.0 25133 c7fe45cf4b819c5991fe208aaa96edf142730f1d)"
	.section	".note.GNU-stack","",@progbits
	.addrsig
	.addrsig_sym __hip_cuid_e2f7418180b3e730
	.amdgpu_metadata
---
amdhsa.kernels:
  - .args:
      - .actual_access:  read_only
        .address_space:  global
        .offset:         0
        .size:           8
        .value_kind:     global_buffer
      - .offset:         8
        .size:           8
        .value_kind:     by_value
      - .actual_access:  read_only
        .address_space:  global
        .offset:         16
        .size:           8
        .value_kind:     global_buffer
      - .actual_access:  read_only
        .address_space:  global
        .offset:         24
        .size:           8
        .value_kind:     global_buffer
      - .offset:         32
        .size:           8
        .value_kind:     by_value
      - .actual_access:  read_only
        .address_space:  global
        .offset:         40
        .size:           8
        .value_kind:     global_buffer
      - .actual_access:  read_only
        .address_space:  global
        .offset:         48
        .size:           8
        .value_kind:     global_buffer
      - .offset:         56
        .size:           4
        .value_kind:     by_value
      - .actual_access:  read_only
        .address_space:  global
        .offset:         64
        .size:           8
        .value_kind:     global_buffer
      - .actual_access:  read_only
        .address_space:  global
        .offset:         72
        .size:           8
        .value_kind:     global_buffer
      - .address_space:  global
        .offset:         80
        .size:           8
        .value_kind:     global_buffer
    .group_segment_fixed_size: 0
    .kernarg_segment_align: 8
    .kernarg_segment_size: 88
    .language:       OpenCL C
    .language_version:
      - 2
      - 0
    .max_flat_workgroup_size: 231
    .name:           fft_rtc_back_len847_factors_11_7_11_wgs_231_tpt_77_halfLds_sp_ip_CI_sbrr_dirReg
    .private_segment_fixed_size: 0
    .sgpr_count:     28
    .sgpr_spill_count: 0
    .symbol:         fft_rtc_back_len847_factors_11_7_11_wgs_231_tpt_77_halfLds_sp_ip_CI_sbrr_dirReg.kd
    .uniform_work_group_size: 1
    .uses_dynamic_stack: false
    .vgpr_count:     94
    .vgpr_spill_count: 0
    .wavefront_size: 64
amdhsa.target:   amdgcn-amd-amdhsa--gfx906
amdhsa.version:
  - 1
  - 2
...

	.end_amdgpu_metadata
